;; amdgpu-corpus repo=zjin-lcf/HeCBench kind=compiled arch=gfx906 opt=O3
	.amdgcn_target "amdgcn-amd-amdhsa--gfx906"
	.amdhsa_code_object_version 6
	.text
	.protected	_Z6tissuePKiPKfS2_PfS2_S2_iiii ; -- Begin function _Z6tissuePKiPKfS2_PfS2_S2_iiii
	.globl	_Z6tissuePKiPKfS2_PfS2_S2_iiii
	.p2align	8
	.type	_Z6tissuePKiPKfS2_PfS2_S2_iiii,@function
_Z6tissuePKiPKfS2_PfS2_S2_iiii:         ; @_Z6tissuePKiPKfS2_PfS2_S2_iiii
; %bb.0:
	s_load_dword s0, s[4:5], 0x4c
	s_load_dwordx4 s[8:11], s[4:5], 0x30
	s_waitcnt lgkmcnt(0)
	s_and_b32 s0, s0, 0xffff
	s_mul_i32 s6, s6, s0
	v_add_u32_e32 v7, s6, v0
	s_mul_i32 s0, s10, s8
	v_cmp_gt_i32_e32 vcc, s0, v7
	s_and_saveexec_b64 s[0:1], vcc
	s_cbranch_execz .LBB0_14
; %bb.1:
	s_abs_i32 s0, s10
	v_cvt_f32_u32_e32 v0, s0
	s_sub_i32 s1, 0, s0
	v_sub_u32_e32 v2, 0, v7
	v_max_i32_e32 v2, v7, v2
	v_rcp_iflag_f32_e32 v0, v0
	v_xor_b32_e32 v3, s10, v7
	v_ashrrev_i32_e32 v5, 31, v3
	s_load_dwordx2 s[2:3], s[4:5], 0x18
	v_mul_f32_e32 v0, 0x4f7ffffe, v0
	v_cvt_u32_f32_e32 v0, v0
	v_mov_b32_e32 v9, 0
	v_mul_lo_u32 v1, s1, v0
	v_mul_hi_u32 v1, v0, v1
	v_add_u32_e32 v0, v0, v1
	v_mul_hi_u32 v0, v2, v0
	v_mul_lo_u32 v1, v0, s0
	v_add_u32_e32 v3, 1, v0
	v_sub_u32_e32 v1, v2, v1
	v_cmp_le_u32_e32 vcc, s0, v1
	v_subrev_u32_e32 v2, s0, v1
	v_cndmask_b32_e32 v0, v0, v3, vcc
	v_cndmask_b32_e32 v1, v1, v2, vcc
	v_add_u32_e32 v2, 1, v0
	v_cmp_le_u32_e32 vcc, s0, v1
	v_cndmask_b32_e32 v0, v0, v2, vcc
	v_xor_b32_e32 v6, v0, v5
	v_sub_u32_e32 v0, v6, v5
	v_mul_lo_u32 v8, v0, s10
	v_cmp_le_i32_e32 vcc, s8, v0
	v_cmp_gt_i32_e64 s[0:1], s8, v0
	v_ashrrev_i32_e32 v1, 31, v0
	s_and_saveexec_b64 s[16:17], s[0:1]
	s_cbranch_execz .LBB0_9
; %bb.2:
	v_sub_u32_e32 v4, v7, v8
	v_lshlrev_b64 v[2:3], 2, v[0:1]
	v_cmp_gt_i32_e64 s[0:1], s8, v4
	v_mov_b32_e32 v9, 0
	s_and_saveexec_b64 s[18:19], s[0:1]
	s_cbranch_execz .LBB0_6
; %bb.3:
	s_load_dwordx4 s[12:15], s[4:5], 0x0
	s_load_dwordx2 s[20:21], s[4:5], 0x10
	s_add_i32 s24, s8, s8
	v_add_u32_e32 v11, s24, v0
	v_ashrrev_i32_e32 v12, 31, v11
	s_waitcnt lgkmcnt(0)
	v_mov_b32_e32 v10, s13
	v_add_co_u32_e64 v14, s[0:1], s12, v2
	v_addc_co_u32_e64 v15, s[0:1], v10, v3, s[0:1]
	s_ashr_i32 s1, s8, 31
	s_mov_b32 s0, s8
	s_lshl_b64 s[22:23], s[0:1], 2
	v_mov_b32_e32 v9, s23
	v_add_co_u32_e64 v16, s[0:1], s22, v14
	v_lshlrev_b64 v[11:12], 2, v[11:12]
	v_addc_co_u32_e64 v17, s[0:1], v15, v9, s[0:1]
	v_mov_b32_e32 v9, s13
	v_add_co_u32_e64 v18, s[0:1], s12, v11
	v_addc_co_u32_e64 v19, s[0:1], v9, v12, s[0:1]
	global_load_dword v11, v[14:15], off
	global_load_dword v12, v[16:17], off
	;; [unrolled: 1-line block ×3, first 2 shown]
	s_load_dwordx4 s[4:7], s[4:5], 0x20
	v_sub_u32_e32 v5, v5, v6
	s_add_i32 s0, s11, -1
	v_mul_lo_u32 v15, s10, v5
	s_add_u32 s26, s12, s22
	v_ashrrev_i32_e32 v5, 31, v4
	s_mul_i32 s9, s0, s9
	s_addc_u32 s0, s13, s23
	s_ashr_i32 s11, s10, 31
	v_lshlrev_b64 v[5:6], 2, v[4:5]
	v_sub_u32_e32 v14, s24, v8
	s_lshl_b64 s[22:23], s[10:11], 2
	v_mov_b32_e32 v9, 0
	s_mov_b64 s[24:25], 0
	v_mov_b32_e32 v16, s0
	v_mov_b32_e32 v17, s15
	s_waitcnt lgkmcnt(0)
	v_mov_b32_e32 v18, s5
	v_mov_b32_e32 v19, s21
	;; [unrolled: 1-line block ×4, first 2 shown]
.LBB0_4:                                ; =>This Inner Loop Header: Depth=1
	v_add_co_u32_e64 v22, s[0:1], s12, v5
	v_addc_co_u32_e64 v23, s[0:1], v10, v6, s[0:1]
	global_load_dword v24, v[22:23], off
	v_add_co_u32_e64 v22, s[0:1], s26, v5
	v_addc_co_u32_e64 v23, s[0:1], v16, v6, s[0:1]
	global_load_dword v25, v[22:23], off
	v_add_u32_e32 v22, v14, v21
	v_ashrrev_i32_e32 v23, 31, v22
	v_lshlrev_b64 v[22:23], 2, v[22:23]
	v_add_u32_e32 v21, s10, v21
	v_add_co_u32_e64 v22, s[0:1], s12, v22
	v_addc_co_u32_e64 v23, s[0:1], v10, v23, s[0:1]
	global_load_dword v22, v[22:23], off
	s_waitcnt vmcnt(2)
	v_sub_u32_e32 v23, v24, v11
	v_sub_u32_e32 v24, 0, v23
	v_max_i32_e32 v23, v23, v24
	v_add_u32_e32 v23, s9, v23
	s_waitcnt vmcnt(1)
	v_sub_u32_e32 v24, v25, v12
	v_sub_u32_e32 v25, 0, v24
	v_max_i32_e32 v24, v24, v25
	s_waitcnt vmcnt(0)
	v_sub_u32_e32 v22, v22, v13
	v_sub_u32_e32 v25, 0, v22
	v_max_i32_e32 v22, v22, v25
	v_add3_u32 v22, v23, v24, v22
	v_ashrrev_i32_e32 v23, 31, v22
	v_lshlrev_b64 v[22:23], 2, v[22:23]
	v_add_co_u32_e64 v24, s[0:1], s14, v22
	v_addc_co_u32_e64 v25, s[0:1], v17, v23, s[0:1]
	global_load_dword v26, v[24:25], off
	v_add_co_u32_e64 v24, s[0:1], s4, v5
	v_addc_co_u32_e64 v25, s[0:1], v18, v6, s[0:1]
	v_add_co_u32_e64 v22, s[0:1], s20, v22
	v_addc_co_u32_e64 v23, s[0:1], v19, v23, s[0:1]
	global_load_dword v24, v[24:25], off
	s_nop 0
	global_load_dword v25, v[22:23], off
	v_add_co_u32_e64 v22, s[0:1], s6, v5
	v_addc_co_u32_e64 v23, s[0:1], v20, v6, s[0:1]
	global_load_dword v22, v[22:23], off
	v_add_co_u32_e64 v5, s[0:1], s22, v5
	v_mov_b32_e32 v23, s23
	v_addc_co_u32_e64 v6, s[0:1], v6, v23, s[0:1]
	s_waitcnt vmcnt(0)
	v_mul_f32_e32 v22, v25, v22
	v_fmac_f32_e32 v22, v26, v24
	v_add_f32_e32 v9, v9, v22
	v_add_u32_e32 v22, v15, v21
	v_cmp_le_i32_e64 s[0:1], s8, v22
	s_or_b64 s[24:25], s[0:1], s[24:25]
	s_andn2_b64 exec, exec, s[24:25]
	s_cbranch_execnz .LBB0_4
; %bb.5:
	s_or_b64 exec, exec, s[24:25]
.LBB0_6:
	s_or_b64 exec, exec, s[18:19]
	v_cmp_eq_u32_e64 s[0:1], 0, v4
	s_and_saveexec_b64 s[4:5], s[0:1]
	s_cbranch_execz .LBB0_8
; %bb.7:
	s_waitcnt lgkmcnt(0)
	v_mov_b32_e32 v4, s3
	v_add_co_u32_e64 v2, s[0:1], s2, v2
	v_addc_co_u32_e64 v3, s[0:1], v4, v3, s[0:1]
	global_store_dword v[2:3], v9, off
.LBB0_8:
	s_or_b64 exec, exec, s[4:5]
.LBB0_9:
	s_or_b64 exec, exec, s[16:17]
	s_cmp_lt_i32 s10, 2
	s_cbranch_scc1 .LBB0_14
; %bb.10:
	v_lshlrev_b64 v[0:1], 2, v[0:1]
	s_waitcnt lgkmcnt(0)
	v_mov_b32_e32 v2, s3
	v_add_co_u32_e64 v0, s[0:1], s2, v0
	v_addc_co_u32_e64 v1, s[0:1], v2, v1, s[0:1]
	s_add_i32 s2, s10, -1
	v_xad_u32 v2, v8, -1, v7
	s_branch .LBB0_12
.LBB0_11:                               ;   in Loop: Header=BB0_12 Depth=1
	s_or_b64 exec, exec, s[0:1]
	s_add_i32 s2, s2, -1
	s_cmp_lg_u32 s2, 0
	s_cbranch_scc0 .LBB0_14
.LBB0_12:                               ; =>This Inner Loop Header: Depth=1
	v_add_co_u32_e64 v2, s[0:1], -1, v2
	s_nor_b64 s[4:5], vcc, s[0:1]
	s_and_saveexec_b64 s[0:1], s[4:5]
	s_cbranch_execz .LBB0_11
; %bb.13:                               ;   in Loop: Header=BB0_12 Depth=1
	global_load_dword v3, v[0:1], off
	s_waitcnt vmcnt(0)
	v_add_f32_e32 v3, v9, v3
	global_store_dword v[0:1], v3, off
	s_branch .LBB0_11
.LBB0_14:
	s_endpgm
	.section	.rodata,"a",@progbits
	.p2align	6, 0x0
	.amdhsa_kernel _Z6tissuePKiPKfS2_PfS2_S2_iiii
		.amdhsa_group_segment_fixed_size 0
		.amdhsa_private_segment_fixed_size 0
		.amdhsa_kernarg_size 320
		.amdhsa_user_sgpr_count 6
		.amdhsa_user_sgpr_private_segment_buffer 1
		.amdhsa_user_sgpr_dispatch_ptr 0
		.amdhsa_user_sgpr_queue_ptr 0
		.amdhsa_user_sgpr_kernarg_segment_ptr 1
		.amdhsa_user_sgpr_dispatch_id 0
		.amdhsa_user_sgpr_flat_scratch_init 0
		.amdhsa_user_sgpr_private_segment_size 0
		.amdhsa_uses_dynamic_stack 0
		.amdhsa_system_sgpr_private_segment_wavefront_offset 0
		.amdhsa_system_sgpr_workgroup_id_x 1
		.amdhsa_system_sgpr_workgroup_id_y 0
		.amdhsa_system_sgpr_workgroup_id_z 0
		.amdhsa_system_sgpr_workgroup_info 0
		.amdhsa_system_vgpr_workitem_id 0
		.amdhsa_next_free_vgpr 27
		.amdhsa_next_free_sgpr 27
		.amdhsa_reserve_vcc 1
		.amdhsa_reserve_flat_scratch 0
		.amdhsa_float_round_mode_32 0
		.amdhsa_float_round_mode_16_64 0
		.amdhsa_float_denorm_mode_32 3
		.amdhsa_float_denorm_mode_16_64 3
		.amdhsa_dx10_clamp 1
		.amdhsa_ieee_mode 1
		.amdhsa_fp16_overflow 0
		.amdhsa_exception_fp_ieee_invalid_op 0
		.amdhsa_exception_fp_denorm_src 0
		.amdhsa_exception_fp_ieee_div_zero 0
		.amdhsa_exception_fp_ieee_overflow 0
		.amdhsa_exception_fp_ieee_underflow 0
		.amdhsa_exception_fp_ieee_inexact 0
		.amdhsa_exception_int_div_zero 0
	.end_amdhsa_kernel
	.text
.Lfunc_end0:
	.size	_Z6tissuePKiPKfS2_PfS2_S2_iiii, .Lfunc_end0-_Z6tissuePKiPKfS2_PfS2_S2_iiii
                                        ; -- End function
	.set _Z6tissuePKiPKfS2_PfS2_S2_iiii.num_vgpr, 27
	.set _Z6tissuePKiPKfS2_PfS2_S2_iiii.num_agpr, 0
	.set _Z6tissuePKiPKfS2_PfS2_S2_iiii.numbered_sgpr, 27
	.set _Z6tissuePKiPKfS2_PfS2_S2_iiii.num_named_barrier, 0
	.set _Z6tissuePKiPKfS2_PfS2_S2_iiii.private_seg_size, 0
	.set _Z6tissuePKiPKfS2_PfS2_S2_iiii.uses_vcc, 1
	.set _Z6tissuePKiPKfS2_PfS2_S2_iiii.uses_flat_scratch, 0
	.set _Z6tissuePKiPKfS2_PfS2_S2_iiii.has_dyn_sized_stack, 0
	.set _Z6tissuePKiPKfS2_PfS2_S2_iiii.has_recursion, 0
	.set _Z6tissuePKiPKfS2_PfS2_S2_iiii.has_indirect_call, 0
	.section	.AMDGPU.csdata,"",@progbits
; Kernel info:
; codeLenInByte = 996
; TotalNumSgprs: 31
; NumVgprs: 27
; ScratchSize: 0
; MemoryBound: 0
; FloatMode: 240
; IeeeMode: 1
; LDSByteSize: 0 bytes/workgroup (compile time only)
; SGPRBlocks: 3
; VGPRBlocks: 6
; NumSGPRsForWavesPerEU: 31
; NumVGPRsForWavesPerEU: 27
; Occupancy: 9
; WaveLimiterHint : 0
; COMPUTE_PGM_RSRC2:SCRATCH_EN: 0
; COMPUTE_PGM_RSRC2:USER_SGPR: 6
; COMPUTE_PGM_RSRC2:TRAP_HANDLER: 0
; COMPUTE_PGM_RSRC2:TGID_X_EN: 1
; COMPUTE_PGM_RSRC2:TGID_Y_EN: 0
; COMPUTE_PGM_RSRC2:TGID_Z_EN: 0
; COMPUTE_PGM_RSRC2:TIDIG_COMP_CNT: 0
	.section	.AMDGPU.gpr_maximums,"",@progbits
	.set amdgpu.max_num_vgpr, 0
	.set amdgpu.max_num_agpr, 0
	.set amdgpu.max_num_sgpr, 0
	.section	.AMDGPU.csdata,"",@progbits
	.type	__hip_cuid_f52953a30a0583e8,@object ; @__hip_cuid_f52953a30a0583e8
	.section	.bss,"aw",@nobits
	.globl	__hip_cuid_f52953a30a0583e8
__hip_cuid_f52953a30a0583e8:
	.byte	0                               ; 0x0
	.size	__hip_cuid_f52953a30a0583e8, 1

	.ident	"AMD clang version 22.0.0git (https://github.com/RadeonOpenCompute/llvm-project roc-7.2.4 26084 f58b06dce1f9c15707c5f808fd002e18c2accf7e)"
	.section	".note.GNU-stack","",@progbits
	.addrsig
	.addrsig_sym __hip_cuid_f52953a30a0583e8
	.amdgpu_metadata
---
amdhsa.kernels:
  - .args:
      - .actual_access:  read_only
        .address_space:  global
        .offset:         0
        .size:           8
        .value_kind:     global_buffer
      - .actual_access:  read_only
        .address_space:  global
        .offset:         8
        .size:           8
        .value_kind:     global_buffer
      - .actual_access:  read_only
        .address_space:  global
        .offset:         16
        .size:           8
        .value_kind:     global_buffer
      - .address_space:  global
        .offset:         24
        .size:           8
        .value_kind:     global_buffer
      - .actual_access:  read_only
        .address_space:  global
        .offset:         32
        .size:           8
        .value_kind:     global_buffer
      - .actual_access:  read_only
        .address_space:  global
        .offset:         40
        .size:           8
        .value_kind:     global_buffer
      - .offset:         48
        .size:           4
        .value_kind:     by_value
      - .offset:         52
        .size:           4
        .value_kind:     by_value
      - .offset:         56
        .size:           4
        .value_kind:     by_value
      - .offset:         60
        .size:           4
        .value_kind:     by_value
      - .offset:         64
        .size:           4
        .value_kind:     hidden_block_count_x
      - .offset:         68
        .size:           4
        .value_kind:     hidden_block_count_y
      - .offset:         72
        .size:           4
        .value_kind:     hidden_block_count_z
      - .offset:         76
        .size:           2
        .value_kind:     hidden_group_size_x
      - .offset:         78
        .size:           2
        .value_kind:     hidden_group_size_y
      - .offset:         80
        .size:           2
        .value_kind:     hidden_group_size_z
      - .offset:         82
        .size:           2
        .value_kind:     hidden_remainder_x
      - .offset:         84
        .size:           2
        .value_kind:     hidden_remainder_y
      - .offset:         86
        .size:           2
        .value_kind:     hidden_remainder_z
      - .offset:         104
        .size:           8
        .value_kind:     hidden_global_offset_x
      - .offset:         112
        .size:           8
        .value_kind:     hidden_global_offset_y
      - .offset:         120
        .size:           8
        .value_kind:     hidden_global_offset_z
      - .offset:         128
        .size:           2
        .value_kind:     hidden_grid_dims
    .group_segment_fixed_size: 0
    .kernarg_segment_align: 8
    .kernarg_segment_size: 320
    .language:       OpenCL C
    .language_version:
      - 2
      - 0
    .max_flat_workgroup_size: 1024
    .name:           _Z6tissuePKiPKfS2_PfS2_S2_iiii
    .private_segment_fixed_size: 0
    .sgpr_count:     31
    .sgpr_spill_count: 0
    .symbol:         _Z6tissuePKiPKfS2_PfS2_S2_iiii.kd
    .uniform_work_group_size: 1
    .uses_dynamic_stack: false
    .vgpr_count:     27
    .vgpr_spill_count: 0
    .wavefront_size: 64
amdhsa.target:   amdgcn-amd-amdhsa--gfx906
amdhsa.version:
  - 1
  - 2
...

	.end_amdgpu_metadata
